;; amdgpu-corpus repo=ROCm/rccl kind=compiled arch=gfx90a opt=O3
	.text
	.amdgcn_target "amdgcn-amd-amdhsa--gfx90a"
	.amdhsa_code_object_version 6
	.protected	_Z10PingKernelPmS_S_    ; -- Begin function _Z10PingKernelPmS_S_
	.globl	_Z10PingKernelPmS_S_
	.p2align	8
	.type	_Z10PingKernelPmS_S_,@function
_Z10PingKernelPmS_S_:                   ; @_Z10PingKernelPmS_S_
; %bb.0:
	s_load_dwordx4 s[0:3], s[4:5], 0x0
	s_load_dwordx2 s[6:7], s[4:5], 0x10
	s_mov_b32 s4, 1
	s_mov_b32 s5, 0
	v_mov_b32_e32 v0, 0
.LBB0_1:                                ; =>This Loop Header: Depth=1
                                        ;     Child Loop BB0_2 Depth 2
                                        ;     Child Loop BB0_4 Depth 2
	;; [unrolled: 1-line block ×1000, first 2 shown]
	v_pk_mov_b32 v[2:3], s[4:5], s[4:5] op_sel:[0,1]
	s_waitcnt lgkmcnt(0)
	global_store_dwordx2 v0, v[2:3], s[2:3]
.LBB0_2:                                ;   Parent Loop BB0_1 Depth=1
                                        ; =>  This Inner Loop Header: Depth=2
	global_load_dwordx2 v[2:3], v0, s[0:1] glc
	s_waitcnt vmcnt(0)
	v_cmp_ne_u64_e32 vcc, s[4:5], v[2:3]
	s_cbranch_vccnz .LBB0_2
; %bb.3:                                ;   in Loop: Header=BB0_1 Depth=1
	s_add_i32 s8, s4, 1
	s_mov_b32 s9, s5
	v_pk_mov_b32 v[2:3], s[8:9], s[8:9] op_sel:[0,1]
	global_store_dwordx2 v0, v[2:3], s[2:3]
.LBB0_4:                                ;   Parent Loop BB0_1 Depth=1
                                        ; =>  This Inner Loop Header: Depth=2
	global_load_dwordx2 v[2:3], v0, s[0:1] glc
	s_waitcnt vmcnt(0)
	v_cmp_ne_u64_e32 vcc, s[8:9], v[2:3]
	s_cbranch_vccnz .LBB0_4
; %bb.5:                                ;   in Loop: Header=BB0_1 Depth=1
	s_add_i32 s8, s4, 2
	s_mov_b32 s9, s5
	v_pk_mov_b32 v[2:3], s[8:9], s[8:9] op_sel:[0,1]
	;; [unrolled: 11-line block ×4, first 2 shown]
	global_store_dwordx2 v0, v[2:3], s[2:3]
.LBB0_10:                               ;   Parent Loop BB0_1 Depth=1
                                        ; =>  This Inner Loop Header: Depth=2
	global_load_dwordx2 v[2:3], v0, s[0:1] glc
	s_waitcnt vmcnt(0)
	v_cmp_ne_u64_e32 vcc, s[8:9], v[2:3]
	s_cbranch_vccnz .LBB0_10
; %bb.11:                               ;   in Loop: Header=BB0_1 Depth=1
	s_add_i32 s8, s4, 5
	s_mov_b32 s9, s5
	v_pk_mov_b32 v[2:3], s[8:9], s[8:9] op_sel:[0,1]
	global_store_dwordx2 v0, v[2:3], s[2:3]
.LBB0_12:                               ;   Parent Loop BB0_1 Depth=1
                                        ; =>  This Inner Loop Header: Depth=2
	global_load_dwordx2 v[2:3], v0, s[0:1] glc
	s_waitcnt vmcnt(0)
	v_cmp_ne_u64_e32 vcc, s[8:9], v[2:3]
	s_cbranch_vccnz .LBB0_12
; %bb.13:                               ;   in Loop: Header=BB0_1 Depth=1
	s_add_i32 s8, s4, 6
	s_mov_b32 s9, s5
	v_pk_mov_b32 v[2:3], s[8:9], s[8:9] op_sel:[0,1]
	;; [unrolled: 11-line block ×45, first 2 shown]
	global_store_dwordx2 v0, v[2:3], s[2:3]
.LBB0_100:                              ;   Parent Loop BB0_1 Depth=1
                                        ; =>  This Inner Loop Header: Depth=2
	global_load_dwordx2 v[2:3], v0, s[0:1] glc
	s_waitcnt vmcnt(0)
	v_cmp_ne_u64_e32 vcc, s[8:9], v[2:3]
	s_cbranch_vccnz .LBB0_100
; %bb.101:                              ;   in Loop: Header=BB0_1 Depth=1
	s_add_i32 s8, s4, 50
	s_mov_b32 s9, s5
	v_pk_mov_b32 v[2:3], s[8:9], s[8:9] op_sel:[0,1]
	global_store_dwordx2 v0, v[2:3], s[2:3]
.LBB0_102:                              ;   Parent Loop BB0_1 Depth=1
                                        ; =>  This Inner Loop Header: Depth=2
	global_load_dwordx2 v[2:3], v0, s[0:1] glc
	s_waitcnt vmcnt(0)
	v_cmp_ne_u64_e32 vcc, s[8:9], v[2:3]
	s_cbranch_vccnz .LBB0_102
; %bb.103:                              ;   in Loop: Header=BB0_1 Depth=1
	s_add_i32 s8, s4, 51
	s_mov_b32 s9, s5
	v_pk_mov_b32 v[2:3], s[8:9], s[8:9] op_sel:[0,1]
	;; [unrolled: 11-line block ×450, first 2 shown]
	global_store_dwordx2 v0, v[2:3], s[2:3]
.LBB0_1000:                             ;   Parent Loop BB0_1 Depth=1
                                        ; =>  This Inner Loop Header: Depth=2
	global_load_dwordx2 v[2:3], v0, s[0:1] glc
	s_waitcnt vmcnt(0)
	v_cmp_ne_u64_e32 vcc, s[8:9], v[2:3]
	s_cbranch_vccnz .LBB0_1000
; %bb.1001:                             ;   in Loop: Header=BB0_1 Depth=1
	s_add_i32 s8, s4, 0x1f4
	s_mov_b32 s9, s5
	v_pk_mov_b32 v[2:3], s[8:9], s[8:9] op_sel:[0,1]
	global_store_dwordx2 v0, v[2:3], s[2:3]
.LBB0_1002:                             ;   Parent Loop BB0_1 Depth=1
                                        ; =>  This Inner Loop Header: Depth=2
	global_load_dwordx2 v[2:3], v0, s[0:1] glc
	s_waitcnt vmcnt(0)
	v_cmp_ne_u64_e32 vcc, s[8:9], v[2:3]
	s_cbranch_vccnz .LBB0_1002
; %bb.1003:                             ;   in Loop: Header=BB0_1 Depth=1
	s_add_i32 s8, s4, 0x1f5
	s_mov_b32 s9, s5
	v_pk_mov_b32 v[2:3], s[8:9], s[8:9] op_sel:[0,1]
	;; [unrolled: 11-line block ×500, first 2 shown]
	global_store_dwordx2 v0, v[2:3], s[2:3]
.LBB0_2000:                             ;   Parent Loop BB0_1 Depth=1
                                        ; =>  This Inner Loop Header: Depth=2
	global_load_dwordx2 v[2:3], v0, s[0:1] glc
	s_waitcnt vmcnt(0)
	v_cmp_ne_u64_e32 vcc, s[8:9], v[2:3]
	s_cbranch_vccnz .LBB0_2000
; %bb.2001:                             ;   in Loop: Header=BB0_1 Depth=1
	s_addk_i32 s4, 0x3e8
	s_cmpk_eq_i32 s4, 0x7d1
	s_cbranch_scc0 .LBB0_1
; %bb.2002:
	s_memrealtime s[4:5]
	s_movk_i32 s8, 0x7d1
	s_mov_b32 s9, 0
	v_mov_b32_e32 v0, 0
.LBB0_2003:                             ; =>This Loop Header: Depth=1
                                        ;     Child Loop BB0_2004 Depth 2
                                        ;     Child Loop BB0_2006 Depth 2
	;; [unrolled: 1-line block ×1250, first 2 shown]
	v_pk_mov_b32 v[2:3], s[8:9], s[8:9] op_sel:[0,1]
	global_store_dwordx2 v0, v[2:3], s[2:3]
.LBB0_2004:                             ;   Parent Loop BB0_2003 Depth=1
                                        ; =>  This Inner Loop Header: Depth=2
	global_load_dwordx2 v[2:3], v0, s[0:1] glc
	s_waitcnt vmcnt(0)
	v_cmp_ne_u64_e32 vcc, s[8:9], v[2:3]
	s_cbranch_vccnz .LBB0_2004
; %bb.2005:                             ;   in Loop: Header=BB0_2003 Depth=1
	s_add_i32 s10, s8, 1
	s_mov_b32 s11, s9
	v_pk_mov_b32 v[2:3], s[10:11], s[10:11] op_sel:[0,1]
	global_store_dwordx2 v0, v[2:3], s[2:3]
.LBB0_2006:                             ;   Parent Loop BB0_2003 Depth=1
                                        ; =>  This Inner Loop Header: Depth=2
	global_load_dwordx2 v[2:3], v0, s[0:1] glc
	s_waitcnt vmcnt(0)
	v_cmp_ne_u64_e32 vcc, s[10:11], v[2:3]
	s_cbranch_vccnz .LBB0_2006
; %bb.2007:                             ;   in Loop: Header=BB0_2003 Depth=1
	s_add_i32 s10, s8, 2
	s_mov_b32 s11, s9
	;; [unrolled: 11-line block ×1249, first 2 shown]
	v_pk_mov_b32 v[2:3], s[10:11], s[10:11] op_sel:[0,1]
	global_store_dwordx2 v0, v[2:3], s[2:3]
.LBB0_4502:                             ;   Parent Loop BB0_2003 Depth=1
                                        ; =>  This Inner Loop Header: Depth=2
	global_load_dwordx2 v[2:3], v0, s[0:1] glc
	s_waitcnt vmcnt(0)
	v_cmp_ne_u64_e32 vcc, s[10:11], v[2:3]
	s_cbranch_vccnz .LBB0_4502
; %bb.4503:                             ;   in Loop: Header=BB0_2003 Depth=1
	s_addk_i32 s8, 0x4e2
	s_cmpk_eq_i32 s8, 0x2ee1
	s_cbranch_scc0 .LBB0_2003
; %bb.4504:
	s_memrealtime s[0:1]
	v_mov_b32_e32 v2, 0
	s_waitcnt lgkmcnt(0)
	s_sub_u32 s0, s0, s4
	s_subb_u32 s1, s1, s5
	v_pk_mov_b32 v[0:1], s[0:1], s[0:1] op_sel:[0,1]
	global_store_dwordx2 v2, v[0:1], s[6:7]
	s_endpgm
	.section	.rodata,"a",@progbits
	.p2align	6, 0x0
	.amdhsa_kernel _Z10PingKernelPmS_S_
		.amdhsa_group_segment_fixed_size 0
		.amdhsa_private_segment_fixed_size 0
		.amdhsa_kernarg_size 24
		.amdhsa_user_sgpr_count 6
		.amdhsa_user_sgpr_private_segment_buffer 1
		.amdhsa_user_sgpr_dispatch_ptr 0
		.amdhsa_user_sgpr_queue_ptr 0
		.amdhsa_user_sgpr_kernarg_segment_ptr 1
		.amdhsa_user_sgpr_dispatch_id 0
		.amdhsa_user_sgpr_flat_scratch_init 0
		.amdhsa_user_sgpr_kernarg_preload_length 0
		.amdhsa_user_sgpr_kernarg_preload_offset 0
		.amdhsa_user_sgpr_private_segment_size 0
		.amdhsa_uses_dynamic_stack 0
		.amdhsa_system_sgpr_private_segment_wavefront_offset 0
		.amdhsa_system_sgpr_workgroup_id_x 1
		.amdhsa_system_sgpr_workgroup_id_y 0
		.amdhsa_system_sgpr_workgroup_id_z 0
		.amdhsa_system_sgpr_workgroup_info 0
		.amdhsa_system_vgpr_workitem_id 0
		.amdhsa_next_free_vgpr 4
		.amdhsa_next_free_sgpr 12
		.amdhsa_accum_offset 4
		.amdhsa_reserve_vcc 1
		.amdhsa_reserve_flat_scratch 0
		.amdhsa_float_round_mode_32 0
		.amdhsa_float_round_mode_16_64 0
		.amdhsa_float_denorm_mode_32 3
		.amdhsa_float_denorm_mode_16_64 3
		.amdhsa_dx10_clamp 1
		.amdhsa_ieee_mode 1
		.amdhsa_fp16_overflow 0
		.amdhsa_tg_split 0
		.amdhsa_exception_fp_ieee_invalid_op 0
		.amdhsa_exception_fp_denorm_src 0
		.amdhsa_exception_fp_ieee_div_zero 0
		.amdhsa_exception_fp_ieee_overflow 0
		.amdhsa_exception_fp_ieee_underflow 0
		.amdhsa_exception_fp_ieee_inexact 0
		.amdhsa_exception_int_div_zero 0
	.end_amdhsa_kernel
	.text
.Lfunc_end0:
	.size	_Z10PingKernelPmS_S_, .Lfunc_end0-_Z10PingKernelPmS_S_
                                        ; -- End function
	.section	.AMDGPU.csdata,"",@progbits
; Kernel info:
; codeLenInByte = 107584
; NumSgprs: 16
; NumVgprs: 4
; NumAgprs: 0
; TotalNumVgprs: 4
; ScratchSize: 0
; MemoryBound: 1
; FloatMode: 240
; IeeeMode: 1
; LDSByteSize: 0 bytes/workgroup (compile time only)
; SGPRBlocks: 1
; VGPRBlocks: 0
; NumSGPRsForWavesPerEU: 16
; NumVGPRsForWavesPerEU: 4
; AccumOffset: 4
; Occupancy: 8
; WaveLimiterHint : 0
; COMPUTE_PGM_RSRC2:SCRATCH_EN: 0
; COMPUTE_PGM_RSRC2:USER_SGPR: 6
; COMPUTE_PGM_RSRC2:TRAP_HANDLER: 0
; COMPUTE_PGM_RSRC2:TGID_X_EN: 1
; COMPUTE_PGM_RSRC2:TGID_Y_EN: 0
; COMPUTE_PGM_RSRC2:TGID_Z_EN: 0
; COMPUTE_PGM_RSRC2:TIDIG_COMP_CNT: 0
; COMPUTE_PGM_RSRC3_GFX90A:ACCUM_OFFSET: 0
; COMPUTE_PGM_RSRC3_GFX90A:TG_SPLIT: 0
	.text
	.protected	_Z10PongKernelPmS_S_    ; -- Begin function _Z10PongKernelPmS_S_
	.globl	_Z10PongKernelPmS_S_
	.p2align	8
	.type	_Z10PongKernelPmS_S_,@function
_Z10PongKernelPmS_S_:                   ; @_Z10PongKernelPmS_S_
; %bb.0:
	s_load_dwordx4 s[0:3], s[4:5], 0x0
	s_load_dwordx2 s[6:7], s[4:5], 0x10
	s_mov_b32 s4, 1
	s_mov_b32 s5, 0
	v_mov_b32_e32 v0, 0
.LBB1_1:                                ; =>This Loop Header: Depth=1
                                        ;     Child Loop BB1_3 Depth 2
                                        ;     Child Loop BB1_5 Depth 2
	;; [unrolled: 1-line block ×999, first 2 shown]
	s_waitcnt lgkmcnt(0)
	global_load_dwordx2 v[2:3], v0, s[0:1] glc
	s_waitcnt vmcnt(0)
	v_cmp_ne_u64_e32 vcc, s[4:5], v[2:3]
	s_cbranch_vccnz .LBB1_1
; %bb.2:                                ;   in Loop: Header=BB1_1 Depth=1
	v_pk_mov_b32 v[2:3], s[4:5], s[4:5] op_sel:[0,1]
	s_add_i32 s8, s4, 1
	s_mov_b32 s9, s5
	global_store_dwordx2 v0, v[2:3], s[2:3]
.LBB1_3:                                ;   Parent Loop BB1_1 Depth=1
                                        ; =>  This Inner Loop Header: Depth=2
	global_load_dwordx2 v[2:3], v0, s[0:1] glc
	s_waitcnt vmcnt(0)
	v_cmp_ne_u64_e32 vcc, s[8:9], v[2:3]
	s_cbranch_vccnz .LBB1_3
; %bb.4:                                ;   in Loop: Header=BB1_1 Depth=1
	v_pk_mov_b32 v[2:3], s[8:9], s[8:9] op_sel:[0,1]
	s_add_i32 s8, s4, 2
	s_mov_b32 s9, s5
	global_store_dwordx2 v0, v[2:3], s[2:3]
.LBB1_5:                                ;   Parent Loop BB1_1 Depth=1
                                        ; =>  This Inner Loop Header: Depth=2
	global_load_dwordx2 v[2:3], v0, s[0:1] glc
	s_waitcnt vmcnt(0)
	v_cmp_ne_u64_e32 vcc, s[8:9], v[2:3]
	s_cbranch_vccnz .LBB1_5
	;; [unrolled: 11-line block ×4, first 2 shown]
; %bb.10:                               ;   in Loop: Header=BB1_1 Depth=1
	v_pk_mov_b32 v[2:3], s[8:9], s[8:9] op_sel:[0,1]
	s_add_i32 s8, s4, 5
	s_mov_b32 s9, s5
	global_store_dwordx2 v0, v[2:3], s[2:3]
.LBB1_11:                               ;   Parent Loop BB1_1 Depth=1
                                        ; =>  This Inner Loop Header: Depth=2
	global_load_dwordx2 v[2:3], v0, s[0:1] glc
	s_waitcnt vmcnt(0)
	v_cmp_ne_u64_e32 vcc, s[8:9], v[2:3]
	s_cbranch_vccnz .LBB1_11
; %bb.12:                               ;   in Loop: Header=BB1_1 Depth=1
	v_pk_mov_b32 v[2:3], s[8:9], s[8:9] op_sel:[0,1]
	s_add_i32 s8, s4, 6
	s_mov_b32 s9, s5
	global_store_dwordx2 v0, v[2:3], s[2:3]
.LBB1_13:                               ;   Parent Loop BB1_1 Depth=1
                                        ; =>  This Inner Loop Header: Depth=2
	global_load_dwordx2 v[2:3], v0, s[0:1] glc
	s_waitcnt vmcnt(0)
	v_cmp_ne_u64_e32 vcc, s[8:9], v[2:3]
	s_cbranch_vccnz .LBB1_13
	;; [unrolled: 11-line block ×45, first 2 shown]
; %bb.100:                              ;   in Loop: Header=BB1_1 Depth=1
	v_pk_mov_b32 v[2:3], s[8:9], s[8:9] op_sel:[0,1]
	s_add_i32 s8, s4, 50
	s_mov_b32 s9, s5
	global_store_dwordx2 v0, v[2:3], s[2:3]
.LBB1_101:                              ;   Parent Loop BB1_1 Depth=1
                                        ; =>  This Inner Loop Header: Depth=2
	global_load_dwordx2 v[2:3], v0, s[0:1] glc
	s_waitcnt vmcnt(0)
	v_cmp_ne_u64_e32 vcc, s[8:9], v[2:3]
	s_cbranch_vccnz .LBB1_101
; %bb.102:                              ;   in Loop: Header=BB1_1 Depth=1
	v_pk_mov_b32 v[2:3], s[8:9], s[8:9] op_sel:[0,1]
	s_add_i32 s8, s4, 51
	s_mov_b32 s9, s5
	global_store_dwordx2 v0, v[2:3], s[2:3]
.LBB1_103:                              ;   Parent Loop BB1_1 Depth=1
                                        ; =>  This Inner Loop Header: Depth=2
	global_load_dwordx2 v[2:3], v0, s[0:1] glc
	s_waitcnt vmcnt(0)
	v_cmp_ne_u64_e32 vcc, s[8:9], v[2:3]
	s_cbranch_vccnz .LBB1_103
	;; [unrolled: 11-line block ×450, first 2 shown]
; %bb.1000:                             ;   in Loop: Header=BB1_1 Depth=1
	v_pk_mov_b32 v[2:3], s[8:9], s[8:9] op_sel:[0,1]
	s_add_i32 s8, s4, 0x1f4
	s_mov_b32 s9, s5
	global_store_dwordx2 v0, v[2:3], s[2:3]
.LBB1_1001:                             ;   Parent Loop BB1_1 Depth=1
                                        ; =>  This Inner Loop Header: Depth=2
	global_load_dwordx2 v[2:3], v0, s[0:1] glc
	s_waitcnt vmcnt(0)
	v_cmp_ne_u64_e32 vcc, s[8:9], v[2:3]
	s_cbranch_vccnz .LBB1_1001
; %bb.1002:                             ;   in Loop: Header=BB1_1 Depth=1
	v_pk_mov_b32 v[2:3], s[8:9], s[8:9] op_sel:[0,1]
	s_add_i32 s8, s4, 0x1f5
	s_mov_b32 s9, s5
	global_store_dwordx2 v0, v[2:3], s[2:3]
.LBB1_1003:                             ;   Parent Loop BB1_1 Depth=1
                                        ; =>  This Inner Loop Header: Depth=2
	global_load_dwordx2 v[2:3], v0, s[0:1] glc
	s_waitcnt vmcnt(0)
	v_cmp_ne_u64_e32 vcc, s[8:9], v[2:3]
	s_cbranch_vccnz .LBB1_1003
	;; [unrolled: 11-line block ×500, first 2 shown]
; %bb.2000:                             ;   in Loop: Header=BB1_1 Depth=1
	s_addk_i32 s4, 0x3e8
	v_pk_mov_b32 v[2:3], s[8:9], s[8:9] op_sel:[0,1]
	s_cmpk_eq_i32 s4, 0x7d1
	global_store_dwordx2 v0, v[2:3], s[2:3]
	s_cbranch_scc0 .LBB1_1
; %bb.2001:
	s_memrealtime s[4:5]
	s_movk_i32 s8, 0x7d1
	s_mov_b32 s9, 0
	v_mov_b32_e32 v0, 0
.LBB1_2002:                             ; =>This Loop Header: Depth=1
                                        ;     Child Loop BB1_2004 Depth 2
                                        ;     Child Loop BB1_2006 Depth 2
	;; [unrolled: 1-line block ×1249, first 2 shown]
	global_load_dwordx2 v[2:3], v0, s[0:1] glc
	s_waitcnt vmcnt(0)
	v_cmp_ne_u64_e32 vcc, s[8:9], v[2:3]
	s_cbranch_vccnz .LBB1_2002
; %bb.2003:                             ;   in Loop: Header=BB1_2002 Depth=1
	v_pk_mov_b32 v[2:3], s[8:9], s[8:9] op_sel:[0,1]
	s_add_i32 s10, s8, 1
	s_mov_b32 s11, s9
	global_store_dwordx2 v0, v[2:3], s[2:3]
.LBB1_2004:                             ;   Parent Loop BB1_2002 Depth=1
                                        ; =>  This Inner Loop Header: Depth=2
	global_load_dwordx2 v[2:3], v0, s[0:1] glc
	s_waitcnt vmcnt(0)
	v_cmp_ne_u64_e32 vcc, s[10:11], v[2:3]
	s_cbranch_vccnz .LBB1_2004
; %bb.2005:                             ;   in Loop: Header=BB1_2002 Depth=1
	v_pk_mov_b32 v[2:3], s[10:11], s[10:11] op_sel:[0,1]
	s_add_i32 s10, s8, 2
	s_mov_b32 s11, s9
	global_store_dwordx2 v0, v[2:3], s[2:3]
.LBB1_2006:                             ;   Parent Loop BB1_2002 Depth=1
                                        ; =>  This Inner Loop Header: Depth=2
	global_load_dwordx2 v[2:3], v0, s[0:1] glc
	s_waitcnt vmcnt(0)
	v_cmp_ne_u64_e32 vcc, s[10:11], v[2:3]
	s_cbranch_vccnz .LBB1_2006
	;; [unrolled: 11-line block ×1249, first 2 shown]
; %bb.4501:                             ;   in Loop: Header=BB1_2002 Depth=1
	s_addk_i32 s8, 0x4e2
	v_pk_mov_b32 v[2:3], s[10:11], s[10:11] op_sel:[0,1]
	s_cmpk_eq_i32 s8, 0x2ee1
	global_store_dwordx2 v0, v[2:3], s[2:3]
	s_cbranch_scc0 .LBB1_2002
; %bb.4502:
	s_memrealtime s[0:1]
	v_mov_b32_e32 v2, 0
	s_waitcnt lgkmcnt(0)
	s_sub_u32 s0, s0, s4
	s_subb_u32 s1, s1, s5
	v_pk_mov_b32 v[0:1], s[0:1], s[0:1] op_sel:[0,1]
	global_store_dwordx2 v2, v[0:1], s[6:7]
	s_endpgm
	.section	.rodata,"a",@progbits
	.p2align	6, 0x0
	.amdhsa_kernel _Z10PongKernelPmS_S_
		.amdhsa_group_segment_fixed_size 0
		.amdhsa_private_segment_fixed_size 0
		.amdhsa_kernarg_size 24
		.amdhsa_user_sgpr_count 6
		.amdhsa_user_sgpr_private_segment_buffer 1
		.amdhsa_user_sgpr_dispatch_ptr 0
		.amdhsa_user_sgpr_queue_ptr 0
		.amdhsa_user_sgpr_kernarg_segment_ptr 1
		.amdhsa_user_sgpr_dispatch_id 0
		.amdhsa_user_sgpr_flat_scratch_init 0
		.amdhsa_user_sgpr_kernarg_preload_length 0
		.amdhsa_user_sgpr_kernarg_preload_offset 0
		.amdhsa_user_sgpr_private_segment_size 0
		.amdhsa_uses_dynamic_stack 0
		.amdhsa_system_sgpr_private_segment_wavefront_offset 0
		.amdhsa_system_sgpr_workgroup_id_x 1
		.amdhsa_system_sgpr_workgroup_id_y 0
		.amdhsa_system_sgpr_workgroup_id_z 0
		.amdhsa_system_sgpr_workgroup_info 0
		.amdhsa_system_vgpr_workitem_id 0
		.amdhsa_next_free_vgpr 4
		.amdhsa_next_free_sgpr 12
		.amdhsa_accum_offset 4
		.amdhsa_reserve_vcc 1
		.amdhsa_reserve_flat_scratch 0
		.amdhsa_float_round_mode_32 0
		.amdhsa_float_round_mode_16_64 0
		.amdhsa_float_denorm_mode_32 3
		.amdhsa_float_denorm_mode_16_64 3
		.amdhsa_dx10_clamp 1
		.amdhsa_ieee_mode 1
		.amdhsa_fp16_overflow 0
		.amdhsa_tg_split 0
		.amdhsa_exception_fp_ieee_invalid_op 0
		.amdhsa_exception_fp_denorm_src 0
		.amdhsa_exception_fp_ieee_div_zero 0
		.amdhsa_exception_fp_ieee_overflow 0
		.amdhsa_exception_fp_ieee_underflow 0
		.amdhsa_exception_fp_ieee_inexact 0
		.amdhsa_exception_int_div_zero 0
	.end_amdhsa_kernel
	.text
.Lfunc_end1:
	.size	_Z10PongKernelPmS_S_, .Lfunc_end1-_Z10PongKernelPmS_S_
                                        ; -- End function
	.section	.AMDGPU.csdata,"",@progbits
; Kernel info:
; codeLenInByte = 107584
; NumSgprs: 16
; NumVgprs: 4
; NumAgprs: 0
; TotalNumVgprs: 4
; ScratchSize: 0
; MemoryBound: 1
; FloatMode: 240
; IeeeMode: 1
; LDSByteSize: 0 bytes/workgroup (compile time only)
; SGPRBlocks: 1
; VGPRBlocks: 0
; NumSGPRsForWavesPerEU: 16
; NumVGPRsForWavesPerEU: 4
; AccumOffset: 4
; Occupancy: 8
; WaveLimiterHint : 0
; COMPUTE_PGM_RSRC2:SCRATCH_EN: 0
; COMPUTE_PGM_RSRC2:USER_SGPR: 6
; COMPUTE_PGM_RSRC2:TRAP_HANDLER: 0
; COMPUTE_PGM_RSRC2:TGID_X_EN: 1
; COMPUTE_PGM_RSRC2:TGID_Y_EN: 0
; COMPUTE_PGM_RSRC2:TGID_Z_EN: 0
; COMPUTE_PGM_RSRC2:TIDIG_COMP_CNT: 0
; COMPUTE_PGM_RSRC3_GFX90A:ACCUM_OFFSET: 0
; COMPUTE_PGM_RSRC3_GFX90A:TG_SPLIT: 0
	.text
	.p2alignl 6, 3212836864
	.fill 256, 4, 3212836864
	.type	__hip_cuid_472cb5a052304bd7,@object ; @__hip_cuid_472cb5a052304bd7
	.section	.bss,"aw",@nobits
	.globl	__hip_cuid_472cb5a052304bd7
__hip_cuid_472cb5a052304bd7:
	.byte	0                               ; 0x0
	.size	__hip_cuid_472cb5a052304bd7, 1

	.ident	"AMD clang version 19.0.0git (https://github.com/RadeonOpenCompute/llvm-project roc-6.4.0 25133 c7fe45cf4b819c5991fe208aaa96edf142730f1d)"
	.section	".note.GNU-stack","",@progbits
	.addrsig
	.addrsig_sym __hip_cuid_472cb5a052304bd7
	.amdgpu_metadata
---
amdhsa.kernels:
  - .agpr_count:     0
    .args:
      - .address_space:  global
        .offset:         0
        .size:           8
        .value_kind:     global_buffer
      - .address_space:  global
        .offset:         8
        .size:           8
        .value_kind:     global_buffer
      - .address_space:  global
        .offset:         16
        .size:           8
        .value_kind:     global_buffer
    .group_segment_fixed_size: 0
    .kernarg_segment_align: 8
    .kernarg_segment_size: 24
    .language:       OpenCL C
    .language_version:
      - 2
      - 0
    .max_flat_workgroup_size: 1024
    .name:           _Z10PingKernelPmS_S_
    .private_segment_fixed_size: 0
    .sgpr_count:     16
    .sgpr_spill_count: 0
    .symbol:         _Z10PingKernelPmS_S_.kd
    .uniform_work_group_size: 1
    .uses_dynamic_stack: false
    .vgpr_count:     4
    .vgpr_spill_count: 0
    .wavefront_size: 64
  - .agpr_count:     0
    .args:
      - .address_space:  global
        .offset:         0
        .size:           8
        .value_kind:     global_buffer
      - .address_space:  global
        .offset:         8
        .size:           8
        .value_kind:     global_buffer
      - .address_space:  global
        .offset:         16
        .size:           8
        .value_kind:     global_buffer
    .group_segment_fixed_size: 0
    .kernarg_segment_align: 8
    .kernarg_segment_size: 24
    .language:       OpenCL C
    .language_version:
      - 2
      - 0
    .max_flat_workgroup_size: 1024
    .name:           _Z10PongKernelPmS_S_
    .private_segment_fixed_size: 0
    .sgpr_count:     16
    .sgpr_spill_count: 0
    .symbol:         _Z10PongKernelPmS_S_.kd
    .uniform_work_group_size: 1
    .uses_dynamic_stack: false
    .vgpr_count:     4
    .vgpr_spill_count: 0
    .wavefront_size: 64
amdhsa.target:   amdgcn-amd-amdhsa--gfx90a
amdhsa.version:
  - 1
  - 2
...

	.end_amdgpu_metadata
